;; amdgpu-corpus repo=ROCm/rocFFT kind=compiled arch=gfx906 opt=O3
	.text
	.amdgcn_target "amdgcn-amd-amdhsa--gfx906"
	.amdhsa_code_object_version 6
	.protected	fft_rtc_back_len200_factors_2_5_10_2_wgs_200_tpt_20_dim2_sp_ip_CI_sbcc_twdbase8_2step_dirReg_intrinsicReadWrite ; -- Begin function fft_rtc_back_len200_factors_2_5_10_2_wgs_200_tpt_20_dim2_sp_ip_CI_sbcc_twdbase8_2step_dirReg_intrinsicReadWrite
	.globl	fft_rtc_back_len200_factors_2_5_10_2_wgs_200_tpt_20_dim2_sp_ip_CI_sbcc_twdbase8_2step_dirReg_intrinsicReadWrite
	.p2align	8
	.type	fft_rtc_back_len200_factors_2_5_10_2_wgs_200_tpt_20_dim2_sp_ip_CI_sbcc_twdbase8_2step_dirReg_intrinsicReadWrite,@function
fft_rtc_back_len200_factors_2_5_10_2_wgs_200_tpt_20_dim2_sp_ip_CI_sbcc_twdbase8_2step_dirReg_intrinsicReadWrite: ; @fft_rtc_back_len200_factors_2_5_10_2_wgs_200_tpt_20_dim2_sp_ip_CI_sbcc_twdbase8_2step_dirReg_intrinsicReadWrite
; %bb.0:
	s_load_dwordx4 s[0:3], s[4:5], 0x10
	s_mov_b32 s7, 0
	s_waitcnt lgkmcnt(0)
	s_load_dwordx2 s[10:11], s[0:1], 0x8
	s_load_dwordx2 s[14:15], s[4:5], 0x0
	;; [unrolled: 1-line block ×4, first 2 shown]
	s_waitcnt lgkmcnt(0)
	s_add_u32 s0, s10, -1
	s_addc_u32 s1, s11, -1
	s_add_u32 s13, 0, 0x99986000
	s_addc_u32 s16, 0, 0x59
	s_add_i32 s16, s16, 0x19999940
	s_mul_hi_u32 s20, s13, -10
	s_sub_i32 s20, s20, s13
	s_mul_i32 s21, s16, -10
	s_mul_i32 s17, s13, -10
	s_add_i32 s20, s20, s21
	s_mul_hi_u32 s18, s16, s17
	s_mul_i32 s19, s16, s17
	s_mul_i32 s22, s13, s20
	s_mul_hi_u32 s17, s13, s17
	s_mul_hi_u32 s21, s13, s20
	s_add_u32 s17, s17, s22
	s_addc_u32 s21, 0, s21
	s_add_u32 s17, s17, s19
	s_mul_hi_u32 s22, s16, s20
	s_addc_u32 s17, s21, s18
	s_addc_u32 s18, s22, 0
	s_mul_i32 s19, s16, s20
	s_add_u32 s17, s17, s19
	v_mov_b32_e32 v1, s17
	s_addc_u32 s18, 0, s18
	v_add_co_u32_e32 v1, vcc, s13, v1
	s_cmp_lg_u64 vcc, 0
	s_addc_u32 s13, s16, s18
	v_readfirstlane_b32 s18, v1
	s_mul_i32 s17, s0, s13
	s_mul_hi_u32 s19, s0, s18
	s_mul_hi_u32 s16, s0, s13
	s_add_u32 s17, s19, s17
	s_addc_u32 s16, 0, s16
	s_mul_hi_u32 s20, s1, s18
	s_mul_i32 s18, s1, s18
	s_add_u32 s17, s17, s18
	s_mul_hi_u32 s19, s1, s13
	s_addc_u32 s16, s16, s20
	s_addc_u32 s17, s19, 0
	s_mul_i32 s13, s1, s13
	s_add_u32 s13, s16, s13
	s_addc_u32 s16, 0, s17
	s_add_u32 s17, s13, 1
	s_addc_u32 s18, s16, 0
	s_add_u32 s19, s13, 2
	s_mul_i32 s21, s16, 10
	s_mul_hi_u32 s22, s13, 10
	s_addc_u32 s20, s16, 0
	s_add_i32 s22, s22, s21
	s_mul_i32 s21, s13, 10
	v_mov_b32_e32 v1, s21
	v_sub_co_u32_e32 v1, vcc, s0, v1
	s_cmp_lg_u64 vcc, 0
	s_subb_u32 s0, s1, s22
	v_subrev_co_u32_e32 v2, vcc, 10, v1
	s_cmp_lg_u64 vcc, 0
	s_subb_u32 s1, s0, 0
	v_readfirstlane_b32 s21, v2
	s_cmp_gt_u32 s21, 9
	s_cselect_b32 s21, -1, 0
	s_cmp_eq_u32 s1, 0
	s_cselect_b32 s1, s21, -1
	s_cmp_lg_u32 s1, 0
	s_cselect_b32 s1, s19, s17
	s_cselect_b32 s17, s20, s18
	v_readfirstlane_b32 s18, v1
	s_cmp_gt_u32 s18, 9
	s_cselect_b32 s18, -1, 0
	s_cmp_eq_u32 s0, 0
	s_cselect_b32 s0, s18, -1
	s_cmp_lg_u32 s0, 0
	s_cselect_b32 s0, s1, s13
	s_cselect_b32 s16, s17, s16
	s_add_u32 s0, s0, 1
	s_addc_u32 s1, s16, 0
	v_mov_b32_e32 v2, s1
	v_mov_b32_e32 v1, s0
	v_cmp_lt_u64_e32 vcc, s[6:7], v[1:2]
	s_mov_b64 s[16:17], 0
	s_cbranch_vccnz .LBB0_2
; %bb.1:
	v_cvt_f32_u32_e32 v1, s0
	s_sub_i32 s7, 0, s0
	v_rcp_iflag_f32_e32 v1, v1
	v_mul_f32_e32 v1, 0x4f7ffffe, v1
	v_cvt_u32_f32_e32 v1, v1
	v_readfirstlane_b32 s13, v1
	s_mul_i32 s7, s7, s13
	s_mul_hi_u32 s7, s13, s7
	s_add_i32 s13, s13, s7
	s_mul_hi_u32 s7, s6, s13
	s_mul_i32 s16, s7, s0
	s_sub_i32 s16, s6, s16
	s_add_i32 s13, s7, 1
	s_sub_i32 s17, s16, s0
	s_cmp_ge_u32 s16, s0
	s_cselect_b32 s7, s13, s7
	s_cselect_b32 s16, s17, s16
	s_add_i32 s13, s7, 1
	s_cmp_ge_u32 s16, s0
	s_cselect_b32 s16, s13, s7
.LBB0_2:
	s_mul_i32 s1, s16, s1
	s_mul_hi_u32 s7, s16, s0
	s_add_i32 s7, s7, s1
	s_mul_i32 s0, s16, s0
	s_sub_u32 s6, s6, s0
	s_load_dwordx4 s[0:3], s[2:3], 0x8
	v_mul_u32_u24_e32 v3, 0x199a, v0
	s_subb_u32 s7, 0, s7
	s_waitcnt lgkmcnt(0)
	s_mul_i32 s3, s6, 10
	v_lshrrev_b32_e32 v4, 16, v3
	s_mul_i32 s7, s7, 10
	s_mul_hi_u32 s1, s6, 10
	s_mul_i32 s6, s3, s0
	s_mul_i32 s2, s2, s16
	v_mul_lo_u16_e32 v1, 10, v4
	s_add_i32 s1, s1, s7
	s_add_i32 s6, s2, s6
	v_sub_u16_e32 v30, v0, v1
	v_mov_b32_e32 v2, s1
	v_add_co_u32_e32 v1, vcc, s3, v30
	s_add_u32 s2, s3, 10
	v_mov_b32_e32 v5, s10
	v_addc_co_u32_e32 v2, vcc, 0, v2, vcc
	s_addc_u32 s3, s1, 0
	v_mov_b32_e32 v6, s11
	v_add_u32_e32 v14, 20, v4
	v_mul_lo_u32 v11, s0, v30
	v_cmp_le_u64_e32 vcc, s[2:3], v[5:6]
	v_mul_lo_u32 v5, s12, v14
	v_add_u32_e32 v6, 0x78, v4
	v_mul_lo_u32 v7, s12, v4
	v_mul_lo_u32 v6, s12, v6
	v_cmp_gt_u64_e64 s[0:1], s[10:11], v[1:2]
	v_add_lshl_u32 v5, v11, v5, 3
	s_or_b64 vcc, vcc, s[0:1]
	v_add_u32_e32 v13, 40, v4
	v_add_lshl_u32 v2, v11, v7, 3
	v_cndmask_b32_e32 v15, -1, v5, vcc
	v_add_lshl_u32 v5, v11, v6, 3
	v_mul_lo_u32 v7, s12, v13
	v_add_u32_e32 v6, 0x8c, v4
	v_mul_lo_u32 v8, s12, v6
	s_lshl_b32 s2, s6, 3
	v_add_lshl_u32 v7, v11, v7, 3
	v_cndmask_b32_e32 v16, -1, v7, vcc
	v_add_lshl_u32 v7, v11, v8, 3
	s_mov_b32 s11, 0x20000
	s_mov_b32 s10, -2
	v_cndmask_b32_e32 v5, -1, v5, vcc
	v_cndmask_b32_e32 v17, -1, v7, vcc
	v_or_b32_e32 v7, 0xa0, v4
	buffer_load_dwordx2 v[5:6], v5, s[8:11], s2 offen
	v_mul_lo_u32 v19, s12, v7
	buffer_load_dwordx2 v[7:8], v16, s[8:11], s2 offen
	buffer_load_dwordx2 v[9:10], v17, s[8:11], s2 offen
	v_add_u32_e32 v16, 0x64, v4
	v_add_u32_e32 v12, 60, v4
	v_mul_lo_u32 v20, s12, v16
	v_mul_lo_u32 v18, s12, v12
	buffer_load_dwordx2 v[16:17], v15, s[8:11], s2 offen
	v_add_lshl_u32 v15, v11, v19, 3
	v_cndmask_b32_e32 v27, -1, v15, vcc
	v_add_lshl_u32 v15, v11, v20, 3
	v_cndmask_b32_e32 v2, -1, v2, vcc
	;; [unrolled: 2-line block ×3, first 2 shown]
	v_cndmask_b32_e32 v26, -1, v18, vcc
	buffer_load_dwordx2 v[18:19], v2, s[8:11], s2 offen
	buffer_load_dwordx2 v[20:21], v15, s[8:11], s2 offen
	v_add_u32_e32 v15, 0x50, v4
	v_mul_lo_u32 v2, s12, v15
	v_add_u32_e32 v22, 0xb4, v4
	v_mul_lo_u32 v28, s12, v22
	buffer_load_dwordx2 v[22:23], v26, s[8:11], s2 offen
	buffer_load_dwordx2 v[24:25], v27, s[8:11], s2 offen
	v_add_lshl_u32 v2, v11, v2, 3
	v_cndmask_b32_e32 v2, -1, v2, vcc
	v_add_lshl_u32 v26, v11, v28, 3
	v_cndmask_b32_e32 v31, -1, v26, vcc
	buffer_load_dwordx2 v[26:27], v2, s[8:11], s2 offen
	buffer_load_dwordx2 v[28:29], v31, s[8:11], s2 offen
	v_mul_u32_u24_e32 v31, 0xa0, v4
	v_lshlrev_b32_e32 v2, 3, v30
	v_add3_u32 v30, 0, v31, v2
	v_add_u32_e32 v31, 0x800, v30
	v_add_u32_e32 v32, 0x1800, v30
	v_bfe_u32 v39, v3, 16, 1
	s_movk_i32 s0, 0xffb0
	s_movk_i32 s1, 0x1900
	;; [unrolled: 1-line block ×3, first 2 shown]
	v_lshrrev_b32_e32 v3, 17, v3
	v_mul_u32_u24_e32 v3, 10, v3
	v_or_b32_e32 v3, v3, v39
	v_mul_u32_u24_e32 v3, 0x50, v3
	v_add3_u32 v3, 0, v3, v2
	s_waitcnt vmcnt(7)
	v_sub_f32_e32 v9, v7, v9
	v_sub_f32_e32 v10, v8, v10
	v_fma_f32 v7, v7, 2.0, -v9
	v_fma_f32 v8, v8, 2.0, -v10
	s_waitcnt vmcnt(6)
	v_sub_f32_e32 v5, v16, v5
	v_sub_f32_e32 v6, v17, v6
	v_fma_f32 v16, v16, 2.0, -v5
	v_fma_f32 v17, v17, 2.0, -v6
	ds_write2_b64 v31, v[16:17], v[5:6] offset0:144 offset1:154
	ds_write2_b64 v32, v[7:8], v[9:10] offset0:32 offset1:42
	s_waitcnt vmcnt(4)
	v_sub_f32_e32 v5, v18, v20
	v_sub_f32_e32 v6, v19, v21
	v_fma_f32 v7, v18, 2.0, -v5
	v_fma_f32 v8, v19, 2.0, -v6
	ds_write2_b64 v30, v[7:8], v[5:6] offset1:10
	s_waitcnt vmcnt(2)
	v_sub_f32_e32 v7, v22, v24
	v_sub_f32_e32 v8, v23, v25
	v_fma_f32 v5, v22, 2.0, -v7
	v_fma_f32 v6, v23, 2.0, -v8
	ds_write_b64 v30, v[5:6] offset:9600
	s_waitcnt vmcnt(0)
	v_sub_f32_e32 v9, v26, v28
	v_sub_f32_e32 v10, v27, v29
	v_add_u32_e32 v5, 0x2400, v30
	v_fma_f32 v16, v26, 2.0, -v9
	v_fma_f32 v17, v27, 2.0, -v10
	ds_write2_b32 v5, v7, v8 offset0:116 offset1:117
	v_add_u32_e32 v5, 0x3000, v30
	ds_write2_b32 v5, v16, v17 offset0:128 offset1:129
	ds_write2_b32 v5, v9, v10 offset0:148 offset1:149
	v_lshlrev_b32_e32 v9, 5, v39
	s_waitcnt lgkmcnt(0)
	s_barrier
	global_load_dwordx4 v[5:8], v9, s[14:15] offset:16
	global_load_dwordx4 v[19:22], v9, s[14:15]
	v_mul_i32_i24_e32 v9, 0xffffffb0, v13
	v_mul_i32_i24_e32 v10, 0xffffffb0, v15
	v_mad_i32_i24 v17, v4, s0, v30
	v_add3_u32 v18, v30, s1, v9
	v_add3_u32 v16, v30, s3, v10
	v_add_u32_e32 v9, 0x2400, v17
	v_add_u32_e32 v10, 0x3200, v17
	;; [unrolled: 1-line block ×3, first 2 shown]
	ds_read2_b64 v[23:26], v9 offset0:48 offset1:248
	ds_read2_b64 v[27:30], v10 offset1:200
	ds_read_b64 v[9:10], v16
	ds_read2_b32 v[31:32], v31 offset0:208 offset1:209
	ds_read_b64 v[33:34], v18
	ds_read_b64 v[35:36], v17 offset:4800
	ds_read_b64 v[37:38], v17
	s_movk_i32 s0, 0x64
	s_waitcnt vmcnt(1) lgkmcnt(6)
	v_mul_f32_e32 v40, v6, v24
	s_waitcnt lgkmcnt(5)
	v_mul_f32_e32 v43, v8, v28
	s_waitcnt vmcnt(0) lgkmcnt(2)
	v_mul_f32_e32 v46, v20, v34
	v_mul_f32_e32 v47, v20, v33
	;; [unrolled: 1-line block ×10, first 2 shown]
	v_fmac_f32_e32 v40, v5, v23
	v_fmac_f32_e32 v43, v7, v27
	v_fmac_f32_e32 v46, v19, v33
	v_fma_f32 v27, v19, v34, -v47
	v_fmac_f32_e32 v48, v21, v9
	v_fma_f32 v23, v5, v24, -v41
	v_fmac_f32_e32 v42, v25, v5
	v_fma_f32 v24, v26, v5, -v6
	v_fma_f32 v25, v7, v28, -v44
	v_fmac_f32_e32 v45, v29, v7
	v_fma_f32 v26, v30, v7, -v8
	v_fma_f32 v28, v21, v10, -v49
	v_sub_f32_e32 v5, v46, v48
	v_sub_f32_e32 v6, v43, v40
	s_waitcnt lgkmcnt(0)
	v_add_f32_e32 v7, v37, v46
	v_add_f32_e32 v8, v38, v27
	;; [unrolled: 1-line block ×7, first 2 shown]
	v_mul_f32_e32 v51, v32, v22
	v_mul_f32_e32 v22, v22, v31
	v_fma_f32 v7, -0.5, v7, v37
	v_fma_f32 v8, -0.5, v8, v38
	v_sub_f32_e32 v9, v27, v28
	v_sub_f32_e32 v10, v25, v23
	v_mul_f32_e32 v50, v20, v36
	v_fmac_f32_e32 v51, v21, v31
	v_fma_f32 v22, v32, v21, -v22
	v_add_f32_e32 v31, v9, v10
	v_sub_f32_e32 v32, v27, v25
	v_mov_b32_e32 v9, v7
	v_mov_b32_e32 v10, v8
	v_sub_f32_e32 v34, v46, v43
	v_mul_f32_e32 v20, v20, v35
	v_fmac_f32_e32 v50, v19, v35
	v_fmac_f32_e32 v9, 0xbf737871, v32
	v_sub_f32_e32 v33, v28, v23
	v_fmac_f32_e32 v10, 0x3f737871, v34
	v_sub_f32_e32 v35, v48, v40
	v_add_f32_e32 v5, v5, v40
	v_add_f32_e32 v6, v6, v23
	v_fmac_f32_e32 v9, 0xbf167918, v33
	v_fmac_f32_e32 v10, 0x3f167918, v35
	v_fma_f32 v29, v19, v36, -v20
	v_add_f32_e32 v5, v5, v43
	v_add_f32_e32 v6, v6, v25
	v_fmac_f32_e32 v9, 0x3e9e377a, v30
	v_fmac_f32_e32 v10, 0x3e9e377a, v31
	v_add_u32_e32 v19, 0xffffed40, v16
	ds_read2_b32 v[20:21], v19 offset1:1
	s_waitcnt lgkmcnt(0)
	s_barrier
	ds_write2_b64 v3, v[5:6], v[9:10] offset1:20
	v_add_f32_e32 v5, v46, v43
	v_fma_f32 v37, -0.5, v5, v37
	v_sub_f32_e32 v5, v48, v46
	v_sub_f32_e32 v6, v40, v43
	v_add_f32_e32 v6, v5, v6
	v_mov_b32_e32 v5, v37
	v_fmac_f32_e32 v5, 0x3f737871, v33
	v_fmac_f32_e32 v37, 0xbf737871, v33
	;; [unrolled: 1-line block ×6, first 2 shown]
	v_add_f32_e32 v6, v27, v25
	v_fmac_f32_e32 v38, -0.5, v6
	v_sub_f32_e32 v6, v28, v27
	v_sub_f32_e32 v9, v23, v25
	v_add_f32_e32 v9, v6, v9
	v_mov_b32_e32 v6, v38
	v_fmac_f32_e32 v6, 0xbf737871, v35
	v_fmac_f32_e32 v38, 0x3f737871, v35
	;; [unrolled: 1-line block ×12, first 2 shown]
	v_sub_f32_e32 v9, v29, v22
	v_sub_f32_e32 v10, v26, v24
	ds_write_b64 v3, v[7:8] offset:640
	v_add_f32_e32 v7, v51, v42
	v_add_f32_e32 v8, v22, v24
	;; [unrolled: 1-line block ×3, first 2 shown]
	v_lshrrev_b32_e32 v9, 1, v14
	ds_write2_b64 v3, v[5:6], v[37:38] offset0:40 offset1:60
	v_sub_f32_e32 v3, v50, v51
	v_sub_f32_e32 v5, v45, v42
	v_fma_f32 v7, -0.5, v7, v20
	v_fma_f32 v8, -0.5, v8, v21
	v_mul_u32_u24_e32 v9, 10, v9
	v_add_f32_e32 v3, v3, v5
	v_add_f32_e32 v5, v20, v50
	;; [unrolled: 1-line block ×3, first 2 shown]
	v_or_b32_e32 v25, v9, v39
	v_sub_f32_e32 v27, v29, v26
	v_mov_b32_e32 v9, v7
	v_mov_b32_e32 v10, v8
	v_sub_f32_e32 v30, v50, v45
	v_add_f32_e32 v5, v5, v51
	v_add_f32_e32 v6, v6, v22
	v_fmac_f32_e32 v9, 0xbf737871, v27
	v_sub_f32_e32 v28, v22, v24
	v_fmac_f32_e32 v10, 0x3f737871, v30
	v_sub_f32_e32 v31, v51, v42
	v_add_f32_e32 v5, v5, v42
	v_add_f32_e32 v6, v6, v24
	v_fmac_f32_e32 v9, 0xbf167918, v28
	v_fmac_f32_e32 v10, 0x3f167918, v31
	v_mul_u32_u24_e32 v25, 0x50, v25
	v_add_f32_e32 v5, v5, v45
	v_add_f32_e32 v6, v6, v26
	v_fmac_f32_e32 v9, 0x3e9e377a, v3
	v_fmac_f32_e32 v10, 0x3e9e377a, v23
	v_add3_u32 v25, 0, v25, v2
	ds_write2_b64 v25, v[5:6], v[9:10] offset1:20
	v_add_f32_e32 v5, v50, v45
	v_fma_f32 v20, -0.5, v5, v20
	v_sub_f32_e32 v5, v51, v50
	v_sub_f32_e32 v6, v42, v45
	v_add_f32_e32 v6, v5, v6
	v_mov_b32_e32 v5, v20
	v_fmac_f32_e32 v7, 0x3f737871, v27
	v_fmac_f32_e32 v5, 0x3f737871, v28
	;; [unrolled: 1-line block ×7, first 2 shown]
	v_mul_lo_u16_e32 v3, 26, v4
	v_fmac_f32_e32 v5, 0x3e9e377a, v6
	v_fmac_f32_e32 v20, 0x3e9e377a, v6
	v_add_f32_e32 v6, v29, v26
	v_lshrrev_b16_e32 v42, 8, v3
	v_fmac_f32_e32 v21, -0.5, v6
	v_sub_f32_e32 v6, v22, v29
	v_sub_f32_e32 v9, v24, v26
	v_mul_lo_u16_e32 v3, 10, v42
	v_add_f32_e32 v9, v6, v9
	v_mov_b32_e32 v6, v21
	v_sub_u16_e32 v3, v4, v3
	v_fmac_f32_e32 v6, 0xbf737871, v31
	v_fmac_f32_e32 v21, 0x3f737871, v31
	;; [unrolled: 1-line block ×3, first 2 shown]
	v_and_b32_e32 v43, 0xff, v3
	v_fmac_f32_e32 v6, 0x3f167918, v30
	v_fmac_f32_e32 v21, 0xbf167918, v30
	;; [unrolled: 1-line block ×3, first 2 shown]
	v_mul_u32_u24_e32 v3, 9, v43
	v_fmac_f32_e32 v6, 0x3e9e377a, v9
	v_fmac_f32_e32 v21, 0x3e9e377a, v9
	v_fmac_f32_e32 v8, 0x3e9e377a, v23
	v_lshlrev_b32_e32 v3, 3, v3
	ds_write2_b64 v25, v[5:6], v[20:21] offset0:40 offset1:60
	ds_write_b64 v25, v[7:8] offset:640
	s_waitcnt lgkmcnt(0)
	s_barrier
	global_load_dwordx4 v[5:8], v3, s[14:15] offset:96
	global_load_dwordx4 v[22:25], v3, s[14:15] offset:112
	;; [unrolled: 1-line block ×4, first 2 shown]
	global_load_dwordx2 v[9:10], v3, s[14:15] offset:128
	v_add_u32_e32 v3, 0x1e00, v17
	ds_read2_b64 v[34:37], v3 offset0:40 offset1:240
	v_add_u32_e32 v21, 0x2b00, v17
	ds_read2_b64 v[38:41], v21 offset0:24 offset1:224
	v_mul_u32_u24_e32 v20, 0x50, v12
	v_add3_u32 v20, 0, v20, v2
	s_waitcnt vmcnt(4) lgkmcnt(1)
	v_mul_f32_e32 v44, v6, v35
	v_mul_f32_e32 v6, v6, v34
	v_fmac_f32_e32 v44, v5, v34
	v_fma_f32 v34, v5, v35, -v6
	v_mul_f32_e32 v35, v37, v8
	v_mul_f32_e32 v5, v36, v8
	v_fmac_f32_e32 v35, v36, v7
	v_fma_f32 v36, v37, v7, -v5
	s_waitcnt vmcnt(3) lgkmcnt(0)
	v_mul_f32_e32 v37, v39, v23
	v_mul_f32_e32 v5, v38, v23
	v_fmac_f32_e32 v37, v38, v22
	v_fma_f32 v38, v39, v22, -v5
	ds_read_b64 v[5:6], v19
	v_mul_f32_e32 v39, v41, v25
	v_mul_f32_e32 v7, v40, v25
	v_fmac_f32_e32 v39, v40, v24
	v_fma_f32 v24, v41, v24, -v7
	ds_read_b64 v[7:8], v18
	s_waitcnt vmcnt(2) lgkmcnt(1)
	v_mul_f32_e32 v25, v27, v6
	v_fmac_f32_e32 v25, v26, v5
	v_mul_f32_e32 v5, v27, v5
	v_fma_f32 v26, v26, v6, -v5
	ds_read_b64 v[5:6], v17 offset:14400
	s_waitcnt lgkmcnt(1)
	v_mul_f32_e32 v27, v29, v8
	ds_read_b64 v[22:23], v20
	v_fmac_f32_e32 v27, v28, v7
	v_mul_f32_e32 v7, v29, v7
	v_fma_f32 v28, v28, v8, -v7
	ds_read_b64 v[7:8], v16
	s_waitcnt vmcnt(1) lgkmcnt(1)
	v_mul_f32_e32 v29, v31, v23
	v_fmac_f32_e32 v29, v30, v22
	v_mul_f32_e32 v22, v31, v22
	v_fma_f32 v22, v30, v23, -v22
	s_waitcnt lgkmcnt(0)
	v_mul_f32_e32 v23, v33, v8
	v_fmac_f32_e32 v23, v32, v7
	v_mul_f32_e32 v7, v33, v7
	v_fma_f32 v30, v32, v8, -v7
	ds_read_b64 v[7:8], v17
	s_waitcnt vmcnt(0)
	v_mul_f32_e32 v31, v6, v10
	v_fmac_f32_e32 v31, v5, v9
	v_mul_f32_e32 v5, v5, v10
	v_fma_f32 v32, v6, v9, -v5
	v_sub_f32_e32 v5, v23, v27
	v_sub_f32_e32 v6, v35, v39
	v_add_f32_e32 v5, v5, v6
	v_add_f32_e32 v6, v27, v39
	s_waitcnt lgkmcnt(0)
	v_fma_f32 v33, -0.5, v6, v7
	v_sub_f32_e32 v40, v30, v36
	v_mov_b32_e32 v41, v33
	v_fmac_f32_e32 v41, 0x3f737871, v40
	v_sub_f32_e32 v45, v28, v24
	v_fmac_f32_e32 v33, 0xbf737871, v40
	v_fmac_f32_e32 v41, 0xbf167918, v45
	;; [unrolled: 1-line block ×5, first 2 shown]
	v_add_f32_e32 v5, v30, v36
	v_fma_f32 v46, -0.5, v5, v8
	v_add_f32_e32 v5, v28, v24
	v_add_f32_e32 v47, v8, v28
	v_fmac_f32_e32 v8, -0.5, v5
	v_sub_f32_e32 v48, v23, v35
	v_mov_b32_e32 v49, v8
	v_sub_f32_e32 v5, v30, v28
	v_sub_f32_e32 v6, v36, v24
	v_fmac_f32_e32 v49, 0xbf737871, v48
	v_sub_f32_e32 v50, v27, v39
	v_fmac_f32_e32 v8, 0x3f737871, v48
	v_add_f32_e32 v5, v5, v6
	v_fmac_f32_e32 v49, 0x3f167918, v50
	v_fmac_f32_e32 v8, 0xbf167918, v50
	;; [unrolled: 1-line block ×4, first 2 shown]
	v_add_f32_e32 v5, v44, v37
	v_fma_f32 v51, -0.5, v5, v25
	v_add_f32_e32 v5, v29, v31
	v_add_f32_e32 v52, v25, v29
	v_fmac_f32_e32 v25, -0.5, v5
	v_sub_f32_e32 v5, v44, v29
	v_sub_f32_e32 v6, v37, v31
	v_add_f32_e32 v5, v5, v6
	v_sub_f32_e32 v53, v34, v38
	v_mov_b32_e32 v6, v25
	v_fmac_f32_e32 v6, 0x3f737871, v53
	v_sub_f32_e32 v54, v22, v32
	v_fmac_f32_e32 v25, 0xbf737871, v53
	v_fmac_f32_e32 v6, 0xbf167918, v54
	v_fmac_f32_e32 v25, 0x3f167918, v54
	v_fmac_f32_e32 v6, 0x3e9e377a, v5
	v_fmac_f32_e32 v25, 0x3e9e377a, v5
	v_add_f32_e32 v5, v34, v38
	v_fma_f32 v55, -0.5, v5, v26
	v_add_f32_e32 v5, v22, v32
	v_add_f32_e32 v56, v26, v22
	v_fmac_f32_e32 v26, -0.5, v5
	v_sub_f32_e32 v5, v34, v22
	v_sub_f32_e32 v9, v38, v32
	v_add_f32_e32 v5, v5, v9
	v_sub_f32_e32 v57, v44, v37
	v_mov_b32_e32 v9, v26
	v_fmac_f32_e32 v9, 0xbf737871, v57
	v_sub_f32_e32 v58, v29, v31
	v_fmac_f32_e32 v26, 0x3f737871, v57
	v_fmac_f32_e32 v9, 0x3f167918, v58
	;; [unrolled: 1-line block ×5, first 2 shown]
	v_mad_u32_u24 v5, v42, s0, v43
	v_mul_f32_e32 v59, 0xbf737871, v9
	v_mul_f32_e32 v60, 0x3e9e377a, v9
	;; [unrolled: 1-line block ×4, first 2 shown]
	v_mul_u32_u24_e32 v5, 0x50, v5
	v_fmac_f32_e32 v59, 0x3e9e377a, v6
	v_fmac_f32_e32 v60, 0x3f737871, v6
	;; [unrolled: 1-line block ×4, first 2 shown]
	v_add3_u32 v2, 0, v5, v2
	v_add_f32_e32 v5, v41, v59
	v_add_f32_e32 v6, v49, v60
	;; [unrolled: 1-line block ×4, first 2 shown]
	v_add_u32_e32 v25, 0x400, v2
	s_barrier
	ds_write2_b64 v25, v[5:6], v[9:10] offset0:72 offset1:172
	v_add_f32_e32 v5, v7, v27
	v_add_f32_e32 v5, v5, v23
	;; [unrolled: 1-line block ×4, first 2 shown]
	v_sub_f32_e32 v5, v27, v23
	v_sub_f32_e32 v9, v39, v35
	v_add_f32_e32 v6, v23, v35
	v_add_f32_e32 v23, v5, v9
	;; [unrolled: 1-line block ×4, first 2 shown]
	v_sub_f32_e32 v9, v28, v30
	v_add_f32_e32 v27, v5, v24
	v_sub_f32_e32 v5, v24, v36
	v_add_f32_e32 v24, v9, v5
	v_add_f32_e32 v5, v52, v44
	;; [unrolled: 1-line block ×3, first 2 shown]
	v_sub_f32_e32 v9, v29, v44
	v_add_f32_e32 v28, v5, v31
	v_sub_f32_e32 v5, v31, v37
	v_add_f32_e32 v29, v9, v5
	v_add_f32_e32 v5, v56, v34
	v_add_f32_e32 v5, v5, v38
	v_sub_f32_e32 v9, v22, v34
	v_add_f32_e32 v22, v5, v32
	v_sub_f32_e32 v5, v32, v38
	v_mov_b32_e32 v32, v55
	v_fmac_f32_e32 v55, 0xbf737871, v58
	v_fma_f32 v7, -0.5, v6, v7
	v_add_f32_e32 v30, v9, v5
	v_mov_b32_e32 v31, v51
	v_fmac_f32_e32 v51, 0x3f737871, v54
	v_fmac_f32_e32 v55, 0xbf167918, v57
	v_mov_b32_e32 v36, v7
	v_mov_b32_e32 v37, v46
	v_fmac_f32_e32 v32, 0x3f737871, v58
	v_fmac_f32_e32 v51, 0x3f167918, v53
	;; [unrolled: 1-line block ×10, first 2 shown]
	v_mul_f32_e32 v34, 0xbf167918, v55
	v_mul_f32_e32 v35, 0xbf4f1bbd, v55
	v_fmac_f32_e32 v7, 0x3f167918, v40
	v_fmac_f32_e32 v46, 0xbf167918, v48
	;; [unrolled: 1-line block ×13, first 2 shown]
	v_mul_f32_e32 v23, 0xbf167918, v32
	v_mul_f32_e32 v24, 0x3f4f1bbd, v32
	v_add_f32_e32 v5, v7, v34
	v_add_f32_e32 v6, v46, v35
	v_sub_f32_e32 v9, v25, v28
	v_sub_f32_e32 v10, v27, v22
	v_add_u32_e32 v38, 0x800, v2
	v_fmac_f32_e32 v23, 0x3f4f1bbd, v31
	v_fmac_f32_e32 v24, 0x3f167918, v31
	ds_write2_b64 v38, v[5:6], v[9:10] offset0:144 offset1:244
	v_sub_f32_e32 v5, v41, v59
	v_sub_f32_e32 v6, v49, v60
	v_sub_f32_e32 v9, v36, v23
	v_sub_f32_e32 v10, v37, v24
	v_add_u32_e32 v29, 0x1000, v2
	ds_write2_b64 v29, v[9:10], v[5:6] offset0:88 offset1:188
	v_add_f32_e32 v5, v25, v28
	v_add_f32_e32 v6, v27, v22
	;; [unrolled: 1-line block ×4, first 2 shown]
	ds_write2_b64 v2, v[5:6], v[9:10] offset1:100
	v_sub_f32_e32 v6, v8, v26
	v_sub_f32_e32 v5, v33, v61
	;; [unrolled: 1-line block ×4, first 2 shown]
	v_add_u32_e32 v2, 0x1800, v2
	s_movk_i32 s0, 0x3e8
	ds_write2_b64 v2, v[5:6], v[7:8] offset0:32 offset1:132
	v_add_u32_e32 v2, 0xffffff9c, v4
	v_cmp_gt_u32_e64 s[0:1], s0, v0
	v_cndmask_b32_e64 v5, v2, v4, s[0:1]
	v_mov_b32_e32 v6, 0
	v_lshlrev_b64 v[7:8], 3, v[5:6]
	v_mov_b32_e32 v38, s15
	v_add_co_u32_e64 v7, s[0:1], s14, v7
	v_addc_co_u32_e64 v8, s[0:1], v38, v8, s[0:1]
	s_waitcnt lgkmcnt(0)
	s_barrier
	global_load_dwordx2 v[26:27], v[7:8], off offset:784
	s_movk_i32 s0, 0x320
	v_add_u32_e32 v2, 0xffffffb0, v4
	v_cmp_gt_u32_e64 s[0:1], s0, v0
	v_cndmask_b32_e64 v9, v2, v14, s[0:1]
	v_mov_b32_e32 v10, v6
	v_lshlrev_b64 v[7:8], 3, v[9:10]
	v_subrev_u32_e32 v2, 60, v4
	v_add_co_u32_e64 v7, s[0:1], s14, v7
	v_addc_co_u32_e64 v8, s[0:1], v38, v8, s[0:1]
	global_load_dwordx2 v[28:29], v[7:8], off offset:784
	s_movk_i32 s0, 0x258
	v_cmp_gt_u32_e64 s[0:1], s0, v0
	v_cndmask_b32_e64 v7, v2, v13, s[0:1]
	v_mov_b32_e32 v8, v6
	v_lshlrev_b64 v[22:23], 3, v[7:8]
	v_subrev_u32_e32 v2, 40, v4
	v_add_co_u32_e64 v30, s[0:1], s14, v22
	v_addc_co_u32_e64 v31, s[0:1], v38, v23, s[0:1]
	s_movk_i32 s0, 0x190
	v_cmp_gt_u32_e64 s[0:1], s0, v0
	ds_read2_b64 v[22:25], v3 offset0:40 offset1:240
	v_cndmask_b32_e64 v2, v2, v12, s[0:1]
	v_mov_b32_e32 v3, v6
	v_lshlrev_b64 v[32:33], 3, v[2:3]
	v_subrev_u32_e32 v3, 20, v4
	v_add_co_u32_e64 v32, s[0:1], s14, v32
	v_addc_co_u32_e64 v33, s[0:1], v38, v33, s[0:1]
	s_movk_i32 s0, 0xc8
	v_cmp_gt_u32_e64 s[0:1], s0, v0
	v_cndmask_b32_e64 v3, v3, v15, s[0:1]
	v_mov_b32_e32 v4, v6
	global_load_dwordx2 v[34:35], v[30:31], off offset:784
	global_load_dwordx2 v[36:37], v[32:33], off offset:784
	v_lshlrev_b64 v[30:31], 3, v[3:4]
	v_add_u32_e32 v6, 0x64, v5
	v_add_co_u32_e64 v30, s[0:1], s14, v30
	v_addc_co_u32_e64 v31, s[0:1], v38, v31, s[0:1]
	v_mul_lo_u32 v4, v1, v5
	s_load_dwordx2 s[0:1], s[4:5], 0x8
	v_mul_lo_u32 v6, v1, v6
	v_mov_b32_e32 v52, 3
	global_load_dwordx2 v[30:31], v[30:31], off offset:784
	v_mul_lo_u32 v44, v1, v9
	s_waitcnt vmcnt(4) lgkmcnt(0)
	v_mul_f32_e32 v8, v27, v23
	v_fmac_f32_e32 v8, v26, v22
	v_mul_f32_e32 v10, v27, v22
	v_lshlrev_b32_sdwa v22, v52, v4 dst_sel:DWORD dst_unused:UNUSED_PAD src0_sel:DWORD src1_sel:BYTE_0
	v_lshlrev_b32_sdwa v27, v52, v6 dst_sel:DWORD dst_unused:UNUSED_PAD src0_sel:DWORD src1_sel:BYTE_0
	v_lshlrev_b32_sdwa v6, v52, v6 dst_sel:DWORD dst_unused:UNUSED_PAD src0_sel:DWORD src1_sel:BYTE_1
	v_lshlrev_b32_sdwa v4, v52, v4 dst_sel:DWORD dst_unused:UNUSED_PAD src0_sel:DWORD src1_sel:BYTE_1
	global_load_dwordx2 v[32:33], v22, s[0:1]
	global_load_dwordx2 v[38:39], v4, s[0:1] offset:2048
	global_load_dwordx2 v[40:41], v27, s[0:1]
	global_load_dwordx2 v[42:43], v6, s[0:1] offset:2048
	v_add_u32_e32 v6, 0x64, v9
	v_mul_lo_u32 v6, v1, v6
	v_lshlrev_b32_sdwa v4, v52, v44 dst_sel:DWORD dst_unused:UNUSED_PAD src0_sel:DWORD src1_sel:BYTE_0
	v_lshlrev_b32_sdwa v22, v52, v44 dst_sel:DWORD dst_unused:UNUSED_PAD src0_sel:DWORD src1_sel:BYTE_1
	global_load_dwordx2 v[44:45], v4, s[0:1]
	global_load_dwordx2 v[46:47], v22, s[0:1] offset:2048
	v_lshlrev_b32_sdwa v4, v52, v6 dst_sel:DWORD dst_unused:UNUSED_PAD src0_sel:DWORD src1_sel:BYTE_0
	v_lshlrev_b32_sdwa v6, v52, v6 dst_sel:DWORD dst_unused:UNUSED_PAD src0_sel:DWORD src1_sel:BYTE_1
	global_load_dwordx2 v[48:49], v4, s[0:1]
	global_load_dwordx2 v[50:51], v6, s[0:1] offset:2048
	v_fma_f32 v4, v26, v23, -v10
	v_mul_lo_u32 v10, v1, v7
	s_waitcnt vmcnt(11)
	v_mul_f32_e32 v22, v29, v24
	v_mul_f32_e32 v6, v29, v25
	v_fma_f32 v53, v28, v25, -v22
	v_lshlrev_b32_sdwa v22, v52, v10 dst_sel:DWORD dst_unused:UNUSED_PAD src0_sel:DWORD src1_sel:BYTE_0
	v_fmac_f32_e32 v6, v28, v24
	v_lshlrev_b32_sdwa v10, v52, v10 dst_sel:DWORD dst_unused:UNUSED_PAD src0_sel:DWORD src1_sel:BYTE_1
	global_load_dwordx2 v[25:26], v22, s[0:1]
	global_load_dwordx2 v[27:28], v10, s[0:1] offset:2048
	ds_read2_b64 v[21:24], v21 offset0:24 offset1:224
	s_waitcnt vmcnt(12) lgkmcnt(0)
	v_mul_f32_e32 v10, v35, v22
	v_fmac_f32_e32 v10, v34, v21
	v_mul_f32_e32 v21, v35, v21
	v_fma_f32 v35, v34, v22, -v21
	s_waitcnt vmcnt(11)
	v_mul_f32_e32 v54, v37, v24
	v_mul_f32_e32 v21, v37, v23
	v_fmac_f32_e32 v54, v36, v23
	v_fma_f32 v36, v36, v24, -v21
	ds_read_b64 v[21:22], v17 offset:14400
	ds_read_b64 v[23:24], v18
	ds_read_b64 v[17:18], v17
	s_waitcnt vmcnt(10) lgkmcnt(2)
	v_mul_f32_e32 v37, v31, v22
	v_fmac_f32_e32 v37, v30, v21
	v_mul_f32_e32 v21, v31, v21
	v_fma_f32 v55, v30, v22, -v21
	v_add_u32_e32 v22, 0x64, v7
	v_mul_lo_u32 v22, v1, v22
	s_waitcnt lgkmcnt(0)
	v_sub_f32_e32 v4, v18, v4
	v_sub_f32_e32 v8, v17, v8
	v_fma_f32 v17, v17, 2.0, -v8
	v_lshlrev_b32_sdwa v31, v52, v22 dst_sel:DWORD dst_unused:UNUSED_PAD src0_sel:DWORD src1_sel:BYTE_0
	s_waitcnt vmcnt(8)
	v_mul_f32_e32 v21, v33, v39
	v_fma_f32 v56, v32, v38, -v21
	v_mul_f32_e32 v39, v32, v39
	s_waitcnt vmcnt(6)
	v_mul_f32_e32 v21, v41, v43
	v_fmac_f32_e32 v39, v33, v38
	v_fma_f32 v38, v40, v42, -v21
	v_mul_f32_e32 v40, v40, v43
	s_waitcnt vmcnt(4)
	v_mul_f32_e32 v21, v45, v47
	v_fmac_f32_e32 v40, v41, v42
	v_fma_f32 v41, v44, v46, -v21
	s_waitcnt vmcnt(2)
	v_mul_f32_e32 v21, v49, v51
	v_mul_f32_e32 v42, v44, v47
	v_fma_f32 v43, v48, v50, -v21
	v_lshlrev_b32_sdwa v32, v52, v22 dst_sel:DWORD dst_unused:UNUSED_PAD src0_sel:DWORD src1_sel:BYTE_1
	global_load_dwordx2 v[21:22], v31, s[0:1]
	global_load_dwordx2 v[29:30], v32, s[0:1] offset:2048
	v_fmac_f32_e32 v42, v45, v46
	v_mul_lo_u32 v32, v1, v2
	v_mul_f32_e32 v44, v48, v51
	v_fmac_f32_e32 v44, v49, v50
	s_waitcnt vmcnt(2)
	v_mul_f32_e32 v31, v26, v28
	v_fma_f32 v45, v25, v27, -v31
	v_mul_f32_e32 v46, v25, v28
	v_add_u32_e32 v25, 0x64, v2
	v_mul_lo_u32 v33, v1, v25
	v_lshlrev_b32_sdwa v31, v52, v32 dst_sel:DWORD dst_unused:UNUSED_PAD src0_sel:DWORD src1_sel:BYTE_0
	v_fmac_f32_e32 v46, v26, v27
	v_lshlrev_b32_sdwa v32, v52, v32 dst_sel:DWORD dst_unused:UNUSED_PAD src0_sel:DWORD src1_sel:BYTE_1
	global_load_dwordx2 v[25:26], v31, s[0:1]
	global_load_dwordx2 v[27:28], v32, s[0:1] offset:2048
	v_lshlrev_b32_sdwa v47, v52, v33 dst_sel:DWORD dst_unused:UNUSED_PAD src0_sel:DWORD src1_sel:BYTE_0
	v_lshlrev_b32_sdwa v48, v52, v33 dst_sel:DWORD dst_unused:UNUSED_PAD src0_sel:DWORD src1_sel:BYTE_1
	global_load_dwordx2 v[31:32], v47, s[0:1]
	global_load_dwordx2 v[33:34], v48, s[0:1] offset:2048
	v_sub_u32_e32 v2, v12, v2
	v_add_u32_e32 v2, v2, v12
	v_mul_lo_u32 v12, s12, v2
	v_add_u32_e32 v2, 0x64, v2
	v_mul_lo_u32 v2, s12, v2
	s_waitcnt vmcnt(4)
	v_mul_f32_e32 v48, v21, v30
	v_mul_f32_e32 v47, v22, v30
	v_fmac_f32_e32 v48, v22, v29
	v_mul_lo_u32 v22, v1, v3
	v_fma_f32 v47, v21, v29, -v47
	s_waitcnt vmcnt(2)
	v_mul_f32_e32 v21, v26, v28
	v_fma_f32 v49, v25, v27, -v21
	v_mul_f32_e32 v50, v25, v28
	s_waitcnt vmcnt(0)
	v_mul_f32_e32 v21, v32, v34
	v_fmac_f32_e32 v50, v26, v27
	v_fma_f32 v51, v31, v33, -v21
	v_lshlrev_b32_sdwa v27, v52, v22 dst_sel:DWORD dst_unused:UNUSED_PAD src0_sel:DWORD src1_sel:BYTE_0
	v_add_u32_e32 v21, 0x64, v3
	v_mul_lo_u32 v1, v1, v21
	v_lshlrev_b32_sdwa v28, v52, v22 dst_sel:DWORD dst_unused:UNUSED_PAD src0_sel:DWORD src1_sel:BYTE_1
	global_load_dwordx2 v[21:22], v27, s[0:1]
	global_load_dwordx2 v[25:26], v28, s[0:1] offset:2048
	v_mul_f32_e32 v31, v31, v34
	v_fmac_f32_e32 v31, v32, v33
	v_lshlrev_b32_sdwa v32, v52, v1 dst_sel:DWORD dst_unused:UNUSED_PAD src0_sel:DWORD src1_sel:BYTE_0
	v_lshlrev_b32_sdwa v1, v52, v1 dst_sel:DWORD dst_unused:UNUSED_PAD src0_sel:DWORD src1_sel:BYTE_1
	global_load_dwordx2 v[27:28], v32, s[0:1]
	global_load_dwordx2 v[29:30], v1, s[0:1] offset:2048
	s_movk_i32 s0, 0x3e7
	v_cmp_lt_u32_e64 s[0:1], s0, v0
	s_waitcnt vmcnt(2)
	v_mul_f32_e32 v1, v22, v26
	v_fma_f32 v32, v21, v25, -v1
	v_mul_f32_e32 v21, v21, v26
	v_mov_b32_e32 v26, 0xc8
	v_cndmask_b32_e64 v0, 0, v26, s[0:1]
	v_add_u32_e32 v5, v5, v0
	v_mul_lo_u32 v26, s12, v5
	s_waitcnt vmcnt(0)
	v_mul_f32_e32 v1, v28, v30
	v_fmac_f32_e32 v21, v22, v25
	v_fma_f32 v22, v27, v29, -v1
	v_fma_f32 v1, v18, 2.0, -v4
	v_mul_f32_e32 v0, v1, v39
	v_mul_f32_e32 v18, v17, v39
	v_fmac_f32_e32 v0, v17, v56
	v_add_lshl_u32 v17, v11, v26, 3
	v_fma_f32 v1, v1, v56, -v18
	v_cndmask_b32_e32 v17, -1, v17, vcc
	buffer_store_dwordx2 v[0:1], v17, s[8:11], s2 offen
	v_add_u32_e32 v0, 0x64, v5
	v_mul_lo_u32 v5, s12, v0
	v_mul_f32_e32 v1, v8, v40
	v_mul_f32_e32 v0, v4, v40
	v_fma_f32 v1, v4, v38, -v1
	v_add_lshl_u32 v4, v11, v5, 3
	v_fmac_f32_e32 v0, v8, v38
	v_cndmask_b32_e32 v8, -1, v4, vcc
	ds_read_b64 v[4:5], v19
	buffer_store_dwordx2 v[0:1], v8, s[8:11], s2 offen
	ds_read_b32 v0, v19
	ds_read_b32 v1, v19 offset:4
	ds_read_b32 v8, v16 offset:4
	v_mul_f32_e32 v25, v27, v30
	v_fmac_f32_e32 v25, v28, v29
	s_waitcnt lgkmcnt(3)
	v_sub_f32_e32 v4, v4, v6
	s_waitcnt lgkmcnt(2)
	v_fma_f32 v6, v0, 2.0, -v4
	v_sub_u32_e32 v0, v14, v9
	v_add_u32_e32 v9, v0, v14
	v_mul_lo_u32 v14, s12, v9
	v_sub_f32_e32 v5, v5, v53
	s_waitcnt lgkmcnt(1)
	v_fma_f32 v1, v1, 2.0, -v5
	v_mul_f32_e32 v0, v1, v42
	v_mul_f32_e32 v17, v6, v42
	v_fmac_f32_e32 v0, v6, v41
	v_add_lshl_u32 v6, v11, v14, 3
	v_fma_f32 v1, v1, v41, -v17
	v_cndmask_b32_e32 v6, -1, v6, vcc
	buffer_store_dwordx2 v[0:1], v6, s[8:11], s2 offen
	v_add_u32_e32 v0, 0x64, v9
	v_mul_f32_e32 v1, v4, v44
	v_mul_lo_u32 v6, s12, v0
	v_mul_f32_e32 v0, v5, v44
	v_fma_f32 v1, v5, v43, -v1
	v_sub_u32_e32 v5, v13, v7
	v_add_u32_e32 v13, v5, v13
	v_mul_lo_u32 v7, s12, v13
	v_fmac_f32_e32 v0, v4, v43
	v_add_lshl_u32 v4, v11, v6, 3
	v_cndmask_b32_e32 v4, -1, v4, vcc
	v_sub_f32_e32 v6, v23, v10
	v_sub_f32_e32 v9, v24, v35
	buffer_store_dwordx2 v[0:1], v4, s[8:11], s2 offen
	v_fma_f32 v10, v23, 2.0, -v6
	v_fma_f32 v1, v24, 2.0, -v9
	v_mul_f32_e32 v4, v10, v46
	v_mul_f32_e32 v0, v1, v46
	v_add_lshl_u32 v7, v11, v7, 3
	v_fma_f32 v1, v1, v45, -v4
	ds_read_b64 v[4:5], v16
	v_fmac_f32_e32 v0, v10, v45
	ds_read_b32 v10, v16
	v_cndmask_b32_e32 v7, -1, v7, vcc
	buffer_store_dwordx2 v[0:1], v7, s[8:11], s2 offen
	ds_read_b64 v[0:1], v20
	s_waitcnt lgkmcnt(2)
	v_sub_f32_e32 v14, v5, v55
	v_mul_f32_e32 v5, v6, v48
	v_sub_f32_e32 v16, v4, v37
	v_mul_f32_e32 v4, v9, v48
	v_fma_f32 v5, v9, v47, -v5
	s_waitcnt lgkmcnt(0)
	v_sub_f32_e32 v9, v0, v54
	v_sub_f32_e32 v7, v1, v36
	v_fmac_f32_e32 v4, v6, v47
	v_fma_f32 v6, v0, 2.0, -v9
	v_fma_f32 v1, v1, 2.0, -v7
	v_mul_f32_e32 v17, v6, v50
	v_mul_f32_e32 v0, v1, v50
	v_fma_f32 v1, v1, v49, -v17
	v_fmac_f32_e32 v0, v6, v49
	v_mul_f32_e32 v17, v9, v31
	v_mul_f32_e32 v6, v7, v31
	v_fma_f32 v10, v10, 2.0, -v16
	v_fma_f32 v7, v7, v51, -v17
	v_fmac_f32_e32 v6, v9, v51
	v_fma_f32 v9, v8, 2.0, -v14
	v_mul_f32_e32 v17, v10, v21
	v_add_u32_e32 v13, 0x64, v13
	v_mul_f32_e32 v8, v9, v21
	v_fma_f32 v9, v9, v32, -v17
	v_mul_lo_u32 v17, s12, v13
	v_fmac_f32_e32 v8, v10, v32
	v_mul_f32_e32 v10, v16, v25
	v_mul_f32_e32 v13, v14, v25
	v_fma_f32 v14, v14, v22, -v10
	v_add_lshl_u32 v10, v11, v17, 3
	v_cndmask_b32_e32 v10, -1, v10, vcc
	buffer_store_dwordx2 v[4:5], v10, s[8:11], s2 offen
	v_add_lshl_u32 v4, v11, v12, 3
	v_cndmask_b32_e32 v4, -1, v4, vcc
	buffer_store_dwordx2 v[0:1], v4, s[8:11], s2 offen
	v_add_lshl_u32 v0, v11, v2, 3
	v_sub_u32_e32 v1, v15, v3
	v_cndmask_b32_e32 v0, -1, v0, vcc
	v_add_u32_e32 v1, v1, v15
	buffer_store_dwordx2 v[6:7], v0, s[8:11], s2 offen
	v_add_u32_e32 v0, 0x64, v1
	v_mul_lo_u32 v2, s12, v1
	v_mul_lo_u32 v0, s12, v0
	v_fmac_f32_e32 v13, v16, v22
	v_add_lshl_u32 v1, v11, v2, 3
	v_add_lshl_u32 v0, v11, v0, 3
	v_cndmask_b32_e32 v1, -1, v1, vcc
	v_cndmask_b32_e32 v0, -1, v0, vcc
	buffer_store_dwordx2 v[8:9], v1, s[8:11], s2 offen
	buffer_store_dwordx2 v[13:14], v0, s[8:11], s2 offen
	s_endpgm
	.section	.rodata,"a",@progbits
	.p2align	6, 0x0
	.amdhsa_kernel fft_rtc_back_len200_factors_2_5_10_2_wgs_200_tpt_20_dim2_sp_ip_CI_sbcc_twdbase8_2step_dirReg_intrinsicReadWrite
		.amdhsa_group_segment_fixed_size 0
		.amdhsa_private_segment_fixed_size 0
		.amdhsa_kernarg_size 88
		.amdhsa_user_sgpr_count 6
		.amdhsa_user_sgpr_private_segment_buffer 1
		.amdhsa_user_sgpr_dispatch_ptr 0
		.amdhsa_user_sgpr_queue_ptr 0
		.amdhsa_user_sgpr_kernarg_segment_ptr 1
		.amdhsa_user_sgpr_dispatch_id 0
		.amdhsa_user_sgpr_flat_scratch_init 0
		.amdhsa_user_sgpr_private_segment_size 0
		.amdhsa_uses_dynamic_stack 0
		.amdhsa_system_sgpr_private_segment_wavefront_offset 0
		.amdhsa_system_sgpr_workgroup_id_x 1
		.amdhsa_system_sgpr_workgroup_id_y 0
		.amdhsa_system_sgpr_workgroup_id_z 0
		.amdhsa_system_sgpr_workgroup_info 0
		.amdhsa_system_vgpr_workitem_id 0
		.amdhsa_next_free_vgpr 62
		.amdhsa_next_free_sgpr 23
		.amdhsa_reserve_vcc 1
		.amdhsa_reserve_flat_scratch 0
		.amdhsa_float_round_mode_32 0
		.amdhsa_float_round_mode_16_64 0
		.amdhsa_float_denorm_mode_32 3
		.amdhsa_float_denorm_mode_16_64 3
		.amdhsa_dx10_clamp 1
		.amdhsa_ieee_mode 1
		.amdhsa_fp16_overflow 0
		.amdhsa_exception_fp_ieee_invalid_op 0
		.amdhsa_exception_fp_denorm_src 0
		.amdhsa_exception_fp_ieee_div_zero 0
		.amdhsa_exception_fp_ieee_overflow 0
		.amdhsa_exception_fp_ieee_underflow 0
		.amdhsa_exception_fp_ieee_inexact 0
		.amdhsa_exception_int_div_zero 0
	.end_amdhsa_kernel
	.text
.Lfunc_end0:
	.size	fft_rtc_back_len200_factors_2_5_10_2_wgs_200_tpt_20_dim2_sp_ip_CI_sbcc_twdbase8_2step_dirReg_intrinsicReadWrite, .Lfunc_end0-fft_rtc_back_len200_factors_2_5_10_2_wgs_200_tpt_20_dim2_sp_ip_CI_sbcc_twdbase8_2step_dirReg_intrinsicReadWrite
                                        ; -- End function
	.section	.AMDGPU.csdata,"",@progbits
; Kernel info:
; codeLenInByte = 5732
; NumSgprs: 27
; NumVgprs: 62
; ScratchSize: 0
; MemoryBound: 0
; FloatMode: 240
; IeeeMode: 1
; LDSByteSize: 0 bytes/workgroup (compile time only)
; SGPRBlocks: 3
; VGPRBlocks: 15
; NumSGPRsForWavesPerEU: 27
; NumVGPRsForWavesPerEU: 62
; Occupancy: 4
; WaveLimiterHint : 0
; COMPUTE_PGM_RSRC2:SCRATCH_EN: 0
; COMPUTE_PGM_RSRC2:USER_SGPR: 6
; COMPUTE_PGM_RSRC2:TRAP_HANDLER: 0
; COMPUTE_PGM_RSRC2:TGID_X_EN: 1
; COMPUTE_PGM_RSRC2:TGID_Y_EN: 0
; COMPUTE_PGM_RSRC2:TGID_Z_EN: 0
; COMPUTE_PGM_RSRC2:TIDIG_COMP_CNT: 0
	.type	__hip_cuid_731bf6076bda8df,@object ; @__hip_cuid_731bf6076bda8df
	.section	.bss,"aw",@nobits
	.globl	__hip_cuid_731bf6076bda8df
__hip_cuid_731bf6076bda8df:
	.byte	0                               ; 0x0
	.size	__hip_cuid_731bf6076bda8df, 1

	.ident	"AMD clang version 19.0.0git (https://github.com/RadeonOpenCompute/llvm-project roc-6.4.0 25133 c7fe45cf4b819c5991fe208aaa96edf142730f1d)"
	.section	".note.GNU-stack","",@progbits
	.addrsig
	.addrsig_sym __hip_cuid_731bf6076bda8df
	.amdgpu_metadata
---
amdhsa.kernels:
  - .args:
      - .actual_access:  read_only
        .address_space:  global
        .offset:         0
        .size:           8
        .value_kind:     global_buffer
      - .address_space:  global
        .offset:         8
        .size:           8
        .value_kind:     global_buffer
      - .actual_access:  read_only
        .address_space:  global
        .offset:         16
        .size:           8
        .value_kind:     global_buffer
      - .actual_access:  read_only
        .address_space:  global
        .offset:         24
        .size:           8
        .value_kind:     global_buffer
      - .offset:         32
        .size:           8
        .value_kind:     by_value
      - .actual_access:  read_only
        .address_space:  global
        .offset:         40
        .size:           8
        .value_kind:     global_buffer
      - .actual_access:  read_only
        .address_space:  global
        .offset:         48
        .size:           8
        .value_kind:     global_buffer
      - .offset:         56
        .size:           4
        .value_kind:     by_value
      - .actual_access:  read_only
        .address_space:  global
        .offset:         64
        .size:           8
        .value_kind:     global_buffer
      - .actual_access:  read_only
        .address_space:  global
        .offset:         72
        .size:           8
        .value_kind:     global_buffer
      - .address_space:  global
        .offset:         80
        .size:           8
        .value_kind:     global_buffer
    .group_segment_fixed_size: 0
    .kernarg_segment_align: 8
    .kernarg_segment_size: 88
    .language:       OpenCL C
    .language_version:
      - 2
      - 0
    .max_flat_workgroup_size: 200
    .name:           fft_rtc_back_len200_factors_2_5_10_2_wgs_200_tpt_20_dim2_sp_ip_CI_sbcc_twdbase8_2step_dirReg_intrinsicReadWrite
    .private_segment_fixed_size: 0
    .sgpr_count:     27
    .sgpr_spill_count: 0
    .symbol:         fft_rtc_back_len200_factors_2_5_10_2_wgs_200_tpt_20_dim2_sp_ip_CI_sbcc_twdbase8_2step_dirReg_intrinsicReadWrite.kd
    .uniform_work_group_size: 1
    .uses_dynamic_stack: false
    .vgpr_count:     62
    .vgpr_spill_count: 0
    .wavefront_size: 64
amdhsa.target:   amdgcn-amd-amdhsa--gfx906
amdhsa.version:
  - 1
  - 2
...

	.end_amdgpu_metadata
